;; amdgpu-corpus repo=ROCm/rocFFT kind=compiled arch=gfx1030 opt=O3
	.text
	.amdgcn_target "amdgcn-amd-amdhsa--gfx1030"
	.amdhsa_code_object_version 6
	.protected	fft_rtc_back_len343_factors_7_7_7_wgs_196_tpt_49_dim2_dp_ip_CI_sbcc_twdbase6_3step_dirReg ; -- Begin function fft_rtc_back_len343_factors_7_7_7_wgs_196_tpt_49_dim2_dp_ip_CI_sbcc_twdbase6_3step_dirReg
	.globl	fft_rtc_back_len343_factors_7_7_7_wgs_196_tpt_49_dim2_dp_ip_CI_sbcc_twdbase6_3step_dirReg
	.p2align	8
	.type	fft_rtc_back_len343_factors_7_7_7_wgs_196_tpt_49_dim2_dp_ip_CI_sbcc_twdbase6_3step_dirReg,@function
fft_rtc_back_len343_factors_7_7_7_wgs_196_tpt_49_dim2_dp_ip_CI_sbcc_twdbase6_3step_dirReg: ; @fft_rtc_back_len343_factors_7_7_7_wgs_196_tpt_49_dim2_dp_ip_CI_sbcc_twdbase6_3step_dirReg
; %bb.0:
	s_load_dwordx4 s[0:3], s[4:5], 0x10
	s_mov_b32 s7, exec_lo
	v_cmpx_gt_u32_e32 0xc0, v0
	s_cbranch_execz .LBB0_2
; %bb.1:
	s_load_dwordx2 s[8:9], s[4:5], 0x8
	v_lshlrev_b32_e32 v5, 4, v0
	s_waitcnt lgkmcnt(0)
	global_load_dwordx4 v[1:4], v5, s[8:9]
	v_add3_u32 v5, 0, v5, 0x55c0
	s_waitcnt vmcnt(0)
	ds_write2_b64 v5, v[1:2], v[3:4] offset1:1
.LBB0_2:
	s_or_b32 exec_lo, exec_lo, s7
	s_waitcnt lgkmcnt(0)
	s_load_dwordx2 s[12:13], s[0:1], 0x8
	s_clause 0x1
	s_load_dwordx2 s[8:9], s[4:5], 0x50
	s_load_dwordx2 s[10:11], s[4:5], 0x0
	;; [unrolled: 1-line block ×3, first 2 shown]
	s_mov_b32 s7, 0
	s_mov_b64 s[16:17], 0
	s_waitcnt lgkmcnt(0)
	s_add_u32 s0, s12, -1
	s_addc_u32 s1, s13, -1
	s_lshr_b64 s[0:1], s[0:1], 2
	s_add_u32 s14, s0, 1
	s_addc_u32 s15, s1, 0
	v_cmp_lt_u64_e64 s0, s[6:7], s[14:15]
	s_and_b32 vcc_lo, exec_lo, s0
	s_cbranch_vccnz .LBB0_4
; %bb.3:
	v_cvt_f32_u32_e32 v1, s14
	s_sub_i32 s1, 0, s14
	v_rcp_iflag_f32_e32 v1, v1
	v_mul_f32_e32 v1, 0x4f7ffffe, v1
	v_cvt_u32_f32_e32 v1, v1
	v_readfirstlane_b32 s0, v1
	s_mul_i32 s1, s1, s0
	s_mul_hi_u32 s1, s0, s1
	s_add_i32 s0, s0, s1
	s_mul_hi_u32 s0, s6, s0
	s_mul_i32 s1, s0, s14
	s_add_i32 s7, s0, 1
	s_sub_i32 s1, s6, s1
	s_sub_i32 s16, s1, s14
	s_cmp_ge_u32 s1, s14
	s_cselect_b32 s0, s7, s0
	s_cselect_b32 s1, s16, s1
	s_add_i32 s7, s0, 1
	s_cmp_ge_u32 s1, s14
	s_cselect_b32 s16, s7, s0
.LBB0_4:
	s_load_dwordx4 s[0:3], s[2:3], 0x8
	s_mul_i32 s7, s16, s15
	s_mul_hi_u32 s15, s16, s14
	s_mul_i32 s14, s16, s14
	s_add_i32 s15, s15, s7
	s_sub_u32 s6, s6, s14
	s_subb_u32 s7, 0, s15
	v_and_b32_e32 v31, 3, v0
	v_alignbit_b32 v1, s7, s6, 30
	s_lshl_b64 s[6:7], s[6:7], 2
                                        ; implicit-def: $vgpr11_vgpr12
                                        ; implicit-def: $vgpr23_vgpr24
                                        ; implicit-def: $vgpr15_vgpr16
                                        ; implicit-def: $vgpr19_vgpr20
                                        ; implicit-def: $vgpr27_vgpr28
                                        ; implicit-def: $vgpr7_vgpr8
                                        ; implicit-def: $vgpr3_vgpr4
	v_mov_b32_e32 v30, s7
	v_or_b32_e32 v29, s6, v31
	v_readfirstlane_b32 s14, v1
	v_cmp_gt_u64_e32 vcc_lo, s[12:13], v[29:30]
	v_lshrrev_b32_e32 v30, 2, v0
	s_waitcnt lgkmcnt(0)
	s_mul_i32 s15, s6, s1
	s_mul_hi_u32 s17, s6, s0
	s_mul_i32 s14, s14, s0
	s_mul_i32 s3, s3, s16
	s_mul_hi_u32 s19, s2, s16
	s_add_i32 s15, s17, s15
	s_mul_i32 s18, s6, s0
	s_mul_i32 s2, s2, s16
	s_add_i32 s19, s19, s3
	s_add_i32 s15, s15, s14
	s_add_u32 s2, s2, s18
	s_addc_u32 s3, s19, s15
	s_add_u32 s6, s6, 4
	s_addc_u32 s7, s7, 0
	v_cmp_le_u64_e64 s6, s[6:7], s[12:13]
	s_or_b32 s30, s6, vcc_lo
	s_and_saveexec_b32 s6, s30
	s_cbranch_execz .LBB0_6
; %bb.5:
	v_mad_u64_u32 v[1:2], null, s0, v31, 0
	v_mad_u64_u32 v[3:4], null, s4, v30, 0
	v_add_nc_u32_e32 v11, 49, v30
	v_add_nc_u32_e32 v12, 0x62, v30
	s_lshl_b64 s[12:13], s[2:3], 4
	v_add_nc_u32_e32 v17, 0x93, v30
	s_add_u32 s7, s8, s12
	v_mad_u64_u32 v[5:6], null, s4, v11, 0
	v_mad_u64_u32 v[7:8], null, s1, v31, v[2:3]
	s_addc_u32 s12, s9, s13
	v_add_nc_u32_e32 v21, 0xf5, v30
	v_add_nc_u32_e32 v22, 0x126, v30
	v_mad_u64_u32 v[8:9], null, s5, v30, v[4:5]
	v_mov_b32_e32 v4, v6
	v_mad_u64_u32 v[9:10], null, s4, v12, 0
	v_mov_b32_e32 v2, v7
	v_mad_u64_u32 v[15:16], null, s4, v21, 0
	v_mad_u64_u32 v[6:7], null, s5, v11, v[4:5]
	v_mov_b32_e32 v4, v8
	v_lshlrev_b64 v[1:2], 4, v[1:2]
	v_mov_b32_e32 v7, v10
	v_add_nc_u32_e32 v8, 0xc4, v30
	v_lshlrev_b64 v[3:4], 4, v[3:4]
	v_add_co_u32 v23, vcc_lo, s7, v1
	v_add_co_ci_u32_e32 v24, vcc_lo, s12, v2, vcc_lo
	v_lshlrev_b64 v[1:2], 4, v[5:6]
	v_mad_u64_u32 v[5:6], null, s5, v12, v[7:8]
	v_mad_u64_u32 v[11:12], null, s4, v17, 0
	;; [unrolled: 1-line block ×3, first 2 shown]
	v_add_co_u32 v3, vcc_lo, v23, v3
	v_add_co_ci_u32_e32 v4, vcc_lo, v24, v4, vcc_lo
	v_add_co_u32 v6, vcc_lo, v23, v1
	v_add_co_ci_u32_e32 v7, vcc_lo, v24, v2, vcc_lo
	v_mov_b32_e32 v1, v12
	v_mov_b32_e32 v2, v14
	;; [unrolled: 1-line block ×3, first 2 shown]
	v_mad_u64_u32 v[17:18], null, s5, v17, v[1:2]
	v_mad_u64_u32 v[18:19], null, s5, v8, v[2:3]
	;; [unrolled: 1-line block ×3, first 2 shown]
	v_lshlrev_b64 v[9:10], 4, v[9:10]
	s_clause 0x1
	global_load_dwordx4 v[1:4], v[3:4], off
	global_load_dwordx4 v[5:8], v[6:7], off
	v_mov_b32_e32 v12, v17
	v_mad_u64_u32 v[16:17], null, s5, v21, v[16:17]
	v_mov_b32_e32 v14, v18
	v_mov_b32_e32 v17, v20
	v_lshlrev_b64 v[11:12], 4, v[11:12]
	v_add_co_u32 v9, vcc_lo, v23, v9
	v_lshlrev_b64 v[13:14], 4, v[13:14]
	v_mad_u64_u32 v[17:18], null, s5, v22, v[17:18]
	v_add_co_ci_u32_e32 v10, vcc_lo, v24, v10, vcc_lo
	v_add_co_u32 v11, vcc_lo, v23, v11
	v_lshlrev_b64 v[15:16], 4, v[15:16]
	v_add_co_ci_u32_e32 v12, vcc_lo, v24, v12, vcc_lo
	v_mov_b32_e32 v20, v17
	v_add_co_u32 v13, vcc_lo, v23, v13
	v_add_co_ci_u32_e32 v14, vcc_lo, v24, v14, vcc_lo
	v_lshlrev_b64 v[17:18], 4, v[19:20]
	v_add_co_u32 v21, vcc_lo, v23, v15
	v_add_co_ci_u32_e32 v22, vcc_lo, v24, v16, vcc_lo
	v_add_co_u32 v32, vcc_lo, v23, v17
	v_add_co_ci_u32_e32 v33, vcc_lo, v24, v18, vcc_lo
	s_clause 0x4
	global_load_dwordx4 v[25:28], v[9:10], off
	global_load_dwordx4 v[17:20], v[11:12], off
	;; [unrolled: 1-line block ×5, first 2 shown]
.LBB0_6:
	s_or_b32 exec_lo, exec_lo, s6
	s_waitcnt vmcnt(0)
	v_add_f64 v[32:33], v[9:10], v[5:6]
	v_add_f64 v[34:35], v[11:12], v[7:8]
	;; [unrolled: 1-line block ×4, first 2 shown]
	v_add_f64 v[21:22], v[25:26], -v[21:22]
	v_add_f64 v[23:24], v[27:28], -v[23:24]
	v_add_f64 v[25:26], v[13:14], v[17:18]
	v_add_f64 v[27:28], v[15:16], v[19:20]
	v_add_f64 v[13:14], v[13:14], -v[17:18]
	v_add_f64 v[15:16], v[15:16], -v[19:20]
	;; [unrolled: 1-line block ×4, first 2 shown]
	s_mov_b32 s12, 0x37e14327
	s_mov_b32 s16, 0xe976ee23
	;; [unrolled: 1-line block ×12, first 2 shown]
	v_add_f64 v[9:10], v[36:37], v[32:33]
	v_add_f64 v[11:12], v[38:39], v[34:35]
	s_mov_b32 s27, 0xbfd5d0dc
	s_mov_b32 s23, 0x3fe77f67
	v_add_f64 v[17:18], v[32:33], -v[25:26]
	v_add_f64 v[19:20], v[34:35], -v[27:28]
	;; [unrolled: 1-line block ×6, first 2 shown]
	v_add_f64 v[21:22], v[13:14], v[21:22]
	v_add_f64 v[23:24], v[15:16], v[23:24]
	v_add_f64 v[13:14], v[5:6], -v[13:14]
	v_add_f64 v[15:16], v[7:8], -v[15:16]
	;; [unrolled: 1-line block ×4, first 2 shown]
	s_mov_b32 s25, 0xbfe77f67
	s_mov_b32 s29, 0x3fd5d0dc
	;; [unrolled: 1-line block ×6, first 2 shown]
	v_add_f64 v[9:10], v[25:26], v[9:10]
	v_add_f64 v[11:12], v[27:28], v[11:12]
	v_add_f64 v[25:26], v[25:26], -v[36:37]
	v_add_f64 v[27:28], v[27:28], -v[38:39]
	v_mul_f64 v[17:18], v[17:18], s[12:13]
	v_mul_f64 v[19:20], v[19:20], s[12:13]
	;; [unrolled: 1-line block ×6, first 2 shown]
	v_add_f64 v[5:6], v[21:22], v[5:6]
	v_add_f64 v[7:8], v[23:24], v[7:8]
	v_lshlrev_b32_e32 v71, 4, v31
	v_add_f64 v[1:2], v[1:2], v[9:10]
	v_add_f64 v[3:4], v[3:4], v[11:12]
	v_mul_f64 v[36:37], v[25:26], s[14:15]
	v_mul_f64 v[38:39], v[27:28], s[14:15]
	v_fma_f64 v[21:22], v[25:26], s[14:15], v[17:18]
	v_fma_f64 v[23:24], v[27:28], s[14:15], v[19:20]
	;; [unrolled: 1-line block ×4, first 2 shown]
	v_fma_f64 v[40:41], v[44:45], s[18:19], -v[40:41]
	v_fma_f64 v[42:43], v[46:47], s[18:19], -v[42:43]
	;; [unrolled: 1-line block ×6, first 2 shown]
	v_fma_f64 v[9:10], v[9:10], s[6:7], v[1:2]
	v_fma_f64 v[11:12], v[11:12], s[6:7], v[3:4]
	v_fma_f64 v[32:33], v[32:33], s[22:23], -v[36:37]
	v_fma_f64 v[34:35], v[34:35], s[22:23], -v[38:39]
	v_fma_f64 v[36:37], v[5:6], s[20:21], v[25:26]
	v_fma_f64 v[25:26], v[7:8], s[20:21], v[27:28]
	;; [unrolled: 1-line block ×6, first 2 shown]
	v_mul_lo_u16 v5, v30, 37
	v_lshrrev_b16 v5, 8, v5
	v_mul_lo_u16 v5, v5, 7
	v_add_f64 v[44:45], v[21:22], v[9:10]
	v_add_f64 v[46:47], v[23:24], v[11:12]
	;; [unrolled: 1-line block ×6, first 2 shown]
	v_sub_nc_u16 v32, v30, v5
	v_mul_u32_u24_e32 v33, 0x1c0, v30
	v_and_b32_e32 v70, 0xff, v32
	v_add3_u32 v33, 0, v33, v71
	v_mul_u32_u24_e32 v32, 6, v70
	v_lshlrev_b32_e32 v32, 4, v32
	v_add_f64 v[5:6], v[25:26], v[44:45]
	v_add_f64 v[7:8], v[46:47], -v[36:37]
	v_add_f64 v[9:10], v[42:43], v[21:22]
	v_add_f64 v[11:12], v[23:24], -v[40:41]
	v_add_f64 v[13:14], v[17:18], -v[38:39]
	v_add_f64 v[15:16], v[27:28], v[19:20]
	v_add_f64 v[17:18], v[38:39], v[17:18]
	v_add_f64 v[19:20], v[19:20], -v[27:28]
	v_add_f64 v[21:22], v[21:22], -v[42:43]
	v_add_f64 v[23:24], v[40:41], v[23:24]
	v_add_f64 v[25:26], v[44:45], -v[25:26]
	v_add_f64 v[27:28], v[36:37], v[46:47]
	ds_write_b128 v33, v[1:4]
	ds_write_b128 v33, v[5:8] offset:64
	ds_write_b128 v33, v[9:12] offset:128
	;; [unrolled: 1-line block ×6, first 2 shown]
	s_waitcnt lgkmcnt(0)
	s_barrier
	buffer_gl0_inv
	s_clause 0x5
	global_load_dwordx4 v[1:4], v32, s[10:11]
	global_load_dwordx4 v[5:8], v32, s[10:11] offset:16
	global_load_dwordx4 v[9:12], v32, s[10:11] offset:80
	;; [unrolled: 1-line block ×5, first 2 shown]
	v_mad_i32_i24 v13, 0xfffffe80, v30, v33
	ds_read_b128 v[32:35], v13 offset:3136
	ds_read_b128 v[36:39], v13 offset:6272
	;; [unrolled: 1-line block ×6, first 2 shown]
	ds_read_b128 v[56:59], v13
	s_waitcnt vmcnt(0) lgkmcnt(0)
	s_barrier
	buffer_gl0_inv
	v_mul_f64 v[26:27], v[34:35], v[3:4]
	v_mul_f64 v[3:4], v[32:33], v[3:4]
	;; [unrolled: 1-line block ×12, first 2 shown]
	v_fma_f64 v[26:27], v[32:33], v[1:2], v[26:27]
	v_fma_f64 v[1:2], v[34:35], v[1:2], -v[3:4]
	v_fma_f64 v[3:4], v[36:37], v[5:6], v[60:61]
	v_fma_f64 v[5:6], v[38:39], v[5:6], -v[7:8]
	;; [unrolled: 2-line block ×6, first 2 shown]
	v_add_f64 v[24:25], v[26:27], v[7:8]
	v_add_f64 v[32:33], v[1:2], v[9:10]
	v_add_f64 v[34:35], v[3:4], v[11:12]
	v_add_f64 v[36:37], v[5:6], v[14:15]
	v_add_f64 v[3:4], v[3:4], -v[11:12]
	v_add_f64 v[5:6], v[5:6], -v[14:15]
	v_add_f64 v[11:12], v[16:17], v[20:21]
	v_add_f64 v[14:15], v[18:19], v[22:23]
	v_add_f64 v[16:17], v[20:21], -v[16:17]
	v_add_f64 v[18:19], v[22:23], -v[18:19]
	;; [unrolled: 1-line block ×4, first 2 shown]
	v_add_f64 v[1:2], v[34:35], v[24:25]
	v_add_f64 v[20:21], v[36:37], v[32:33]
	v_add_f64 v[22:23], v[24:25], -v[11:12]
	v_add_f64 v[26:27], v[32:33], -v[14:15]
	;; [unrolled: 1-line block ×6, first 2 shown]
	v_add_f64 v[48:49], v[16:17], v[3:4]
	v_add_f64 v[5:6], v[18:19], v[5:6]
	v_add_f64 v[16:17], v[7:8], -v[16:17]
	v_add_f64 v[18:19], v[9:10], -v[18:19]
	v_add_f64 v[24:25], v[34:35], -v[24:25]
	v_add_f64 v[32:33], v[36:37], -v[32:33]
	v_add_f64 v[46:47], v[11:12], v[1:2]
	v_add_f64 v[20:21], v[14:15], v[20:21]
	v_add_f64 v[11:12], v[11:12], -v[34:35]
	v_add_f64 v[14:15], v[14:15], -v[36:37]
	v_mul_f64 v[22:23], v[22:23], s[12:13]
	v_mul_f64 v[26:27], v[26:27], s[12:13]
	;; [unrolled: 1-line block ×6, first 2 shown]
	v_add_f64 v[7:8], v[48:49], v[7:8]
	v_add_f64 v[5:6], v[5:6], v[9:10]
	;; [unrolled: 1-line block ×4, first 2 shown]
	v_mul_f64 v[34:35], v[11:12], s[14:15]
	v_mul_f64 v[36:37], v[14:15], s[14:15]
	v_fma_f64 v[9:10], v[11:12], s[14:15], v[22:23]
	v_fma_f64 v[11:12], v[14:15], s[14:15], v[26:27]
	;; [unrolled: 1-line block ×4, first 2 shown]
	v_fma_f64 v[38:39], v[42:43], s[18:19], -v[38:39]
	v_fma_f64 v[16:17], v[16:17], s[28:29], -v[50:51]
	;; [unrolled: 1-line block ×6, first 2 shown]
	v_fma_f64 v[42:43], v[46:47], s[6:7], v[1:2]
	v_fma_f64 v[20:21], v[20:21], s[6:7], v[3:4]
	v_fma_f64 v[24:25], v[24:25], s[22:23], -v[34:35]
	v_fma_f64 v[32:33], v[32:33], s[22:23], -v[36:37]
	v_fma_f64 v[34:35], v[7:8], s[20:21], v[14:15]
	v_fma_f64 v[36:37], v[5:6], s[20:21], v[48:49]
	;; [unrolled: 1-line block ×6, first 2 shown]
	v_mul_u32_u24_e32 v5, 0x925, v0
	v_lshrrev_b32_e32 v5, 16, v5
	v_add_f64 v[48:49], v[9:10], v[42:43]
	v_add_f64 v[50:51], v[11:12], v[20:21]
	;; [unrolled: 1-line block ×6, first 2 shown]
	v_mul_lo_u16 v28, v5, 49
	v_add_f64 v[5:6], v[36:37], v[48:49]
	v_add_f64 v[7:8], v[50:51], -v[34:35]
	v_add_f64 v[9:10], v[46:47], v[22:23]
	v_add_f64 v[11:12], v[26:27], -v[44:45]
	v_add_f64 v[14:15], v[18:19], -v[40:41]
	v_add_f64 v[16:17], v[38:39], v[20:21]
	v_add_f64 v[18:19], v[40:41], v[18:19]
	v_add_f64 v[20:21], v[20:21], -v[38:39]
	v_add_f64 v[22:23], v[22:23], -v[46:47]
	v_add_f64 v[24:25], v[44:45], v[26:27]
	v_add_f64 v[32:33], v[48:49], -v[36:37]
	v_add_f64 v[34:35], v[34:35], v[50:51]
	v_and_b32_e32 v26, 0xffff, v28
	v_add_lshl_u32 v26, v26, v70, 6
	v_add3_u32 v26, 0, v26, v71
	ds_write_b128 v26, v[1:4]
	ds_write_b128 v26, v[5:8] offset:448
	ds_write_b128 v26, v[9:12] offset:896
	ds_write_b128 v26, v[14:17] offset:1344
	ds_write_b128 v26, v[18:21] offset:1792
	ds_write_b128 v26, v[22:25] offset:2240
	ds_write_b128 v26, v[32:35] offset:2688
	s_waitcnt lgkmcnt(0)
	s_barrier
	buffer_gl0_inv
	s_and_saveexec_b32 s31, s30
	s_cbranch_execz .LBB0_8
; %bb.7:
	v_mul_lo_u16 v1, v30, 21
	v_mul_lo_u32 v3, 0xffffffcf, v29
	s_add_i32 s30, 0, 0x55c0
	v_lshrrev_b16 v1, 10, v1
	v_mul_lo_u16 v1, v1, 49
	v_sub_nc_u16 v1, v30, v1
	v_and_b32_e32 v14, 0xff, v1
	v_mul_u32_u24_e32 v1, 6, v14
	v_add_nc_u32_e32 v2, 0x126, v14
	v_lshlrev_b32_e32 v92, 4, v1
	v_mul_lo_u32 v1, v14, v29
	v_mul_lo_u32 v2, v2, v29
	s_clause 0x1
	global_load_dwordx4 v[15:18], v92, s[10:11] offset:704
	global_load_dwordx4 v[19:22], v92, s[10:11] offset:688
	v_lshrrev_b32_e32 v4, 2, v1
	v_and_b32_e32 v5, 63, v1
	v_lshrrev_b32_e32 v1, 8, v1
	v_lshrrev_b32_e32 v6, 2, v2
	v_add_nc_u32_e32 v7, v2, v3
	v_and_b32_e32 v4, 0x3f0, v4
	v_lshl_add_u32 v9, v5, 4, 0
	v_and_b32_e32 v5, 63, v2
	v_lshrrev_b32_e32 v2, 8, v2
	v_and_b32_e32 v1, 0x3f0, v1
	v_add_nc_u32_e32 v4, s30, v4
	v_and_b32_e32 v10, 0x3f0, v6
	v_lshrrev_b32_e32 v11, 2, v7
	v_add_nc_u32_e32 v27, v7, v3
	v_and_b32_e32 v12, 63, v7
	v_and_b32_e32 v2, 0x3f0, v2
	v_add_nc_u32_e32 v1, s30, v1
	v_lshl_add_u32 v32, v5, 4, 0
	v_lshrrev_b32_e32 v28, 8, v7
	ds_read_b128 v[5:8], v4 offset:1024
	v_add_nc_u32_e32 v4, s30, v10
	v_and_b32_e32 v33, 0x3f0, v11
	v_lshrrev_b32_e32 v34, 2, v27
	v_and_b32_e32 v35, 63, v27
	v_lshl_add_u32 v40, v12, 4, 0
	ds_read_b128 v[9:12], v9 offset:21952
	ds_read_b128 v[23:26], v1 offset:2048
	v_add_nc_u32_e32 v1, s30, v2
	v_add_nc_u32_e32 v41, v27, v3
	v_and_b32_e32 v2, 0x3f0, v28
	v_lshrrev_b32_e32 v42, 8, v27
	ds_read_b128 v[27:30], v4 offset:1024
	v_add_nc_u32_e32 v4, s30, v33
	v_and_b32_e32 v48, 0x3f0, v34
	v_lshl_add_u32 v64, v35, 4, 0
	ds_read_b128 v[32:35], v32 offset:21952
	ds_read_b128 v[36:39], v1 offset:2048
	v_lshrrev_b32_e32 v49, 2, v41
	v_and_b32_e32 v50, 63, v41
	v_add_nc_u32_e32 v1, s30, v2
	v_add_nc_u32_e32 v68, v41, v3
	v_and_b32_e32 v2, 0x3f0, v42
	v_and_b32_e32 v52, 0x3f0, v49
	v_lshrrev_b32_e32 v69, 8, v41
	ds_read_b128 v[40:43], v40 offset:21952
	ds_read_b128 v[44:47], v4 offset:1024
	v_add_nc_u32_e32 v4, s30, v48
	v_lshl_add_u32 v56, v50, 4, 0
	ds_read_b128 v[48:51], v1 offset:2048
	v_add_nc_u32_e32 v1, s30, v52
	s_waitcnt lgkmcnt(7)
	v_mul_f64 v[72:73], v[11:12], v[7:8]
	v_mul_f64 v[7:8], v[9:10], v[7:8]
	ds_read_b128 v[52:55], v4 offset:1024
	ds_read_b128 v[56:59], v56 offset:21952
	;; [unrolled: 1-line block ×4, first 2 shown]
	v_lshrrev_b32_e32 v70, 2, v68
	v_and_b32_e32 v71, 63, v68
	v_add_nc_u32_e32 v2, s30, v2
	s_waitcnt lgkmcnt(8)
	v_mul_f64 v[76:77], v[34:35], v[29:30]
	v_mul_f64 v[29:30], v[32:33], v[29:30]
	v_and_b32_e32 v4, 0x3f0, v70
	v_lshl_add_u32 v87, v71, 4, 0
	v_add_nc_u32_e32 v86, v68, v3
	v_and_b32_e32 v1, 0x3f0, v69
	v_lshrrev_b32_e32 v3, 8, v68
	v_add_nc_u32_e32 v74, s30, v4
	ds_read_b128 v[68:71], v2 offset:2048
	s_waitcnt lgkmcnt(6)
	v_mul_f64 v[78:79], v[42:43], v[46:47]
	v_mul_f64 v[46:47], v[40:41], v[46:47]
	v_lshrrev_b32_e32 v88, 2, v86
	v_and_b32_e32 v89, 0x3f0, v3
	v_add_nc_u32_e32 v1, s30, v1
	v_fma_f64 v[80:81], v[9:10], v[5:6], -v[72:73]
	ds_read_b128 v[72:75], v74 offset:1024
	v_fma_f64 v[82:83], v[11:12], v[5:6], v[7:8]
	s_waitcnt lgkmcnt(2)
	v_mul_f64 v[9:10], v[66:67], v[54:55]
	v_mul_f64 v[11:12], v[64:65], v[54:55]
	v_lshrrev_b32_e32 v5, 8, v86
	v_fma_f64 v[76:77], v[32:33], v[27:28], -v[76:77]
	v_fma_f64 v[84:85], v[34:35], v[27:28], v[29:30]
	ds_read_b128 v[27:30], v87 offset:21952
	v_and_b32_e32 v6, 63, v86
	v_and_b32_e32 v7, 0x3f0, v88
	v_add_nc_u32_e32 v8, s30, v89
	v_and_b32_e32 v32, 0x3f0, v5
	v_mul_f64 v[54:55], v[58:59], v[62:63]
	v_lshl_add_u32 v33, v6, 4, 0
	v_add_nc_u32_e32 v88, s30, v7
	v_mul_f64 v[62:63], v[56:57], v[62:63]
	ds_read_b128 v[1:4], v1 offset:2048
	ds_read_b128 v[5:8], v8 offset:2048
	v_add_nc_u32_e32 v89, s30, v32
	v_fma_f64 v[78:79], v[40:41], v[44:45], -v[78:79]
	v_fma_f64 v[86:87], v[42:43], v[44:45], v[46:47]
	ds_read_b128 v[32:35], v33 offset:21952
	ds_read_b128 v[40:43], v88 offset:1024
	global_load_dwordx4 v[44:47], v92, s[10:11] offset:736
	v_fma_f64 v[64:65], v[64:65], v[52:53], -v[9:10]
	v_fma_f64 v[66:67], v[66:67], v[52:53], v[11:12]
	ds_read_b128 v[9:12], v89 offset:2048
	s_waitcnt lgkmcnt(5)
	v_mul_f64 v[52:53], v[29:30], v[74:75]
	v_mul_f64 v[74:75], v[27:28], v[74:75]
	v_fma_f64 v[56:57], v[56:57], v[60:61], -v[54:55]
	v_fma_f64 v[58:59], v[58:59], v[60:61], v[62:63]
	s_waitcnt lgkmcnt(1)
	v_mul_f64 v[60:61], v[34:35], v[42:43]
	v_mul_f64 v[42:43], v[32:33], v[42:43]
	v_fma_f64 v[62:63], v[27:28], v[72:73], -v[52:53]
	v_fma_f64 v[72:73], v[29:30], v[72:73], v[74:75]
	ds_read_b128 v[27:30], v13 offset:9408
	ds_read_b128 v[52:55], v13 offset:6272
	v_fma_f64 v[60:61], v[32:33], v[40:41], -v[60:61]
	v_fma_f64 v[74:75], v[34:35], v[40:41], v[42:43]
	global_load_dwordx4 v[32:35], v92, s[10:11] offset:720
	s_waitcnt vmcnt(3) lgkmcnt(1)
	v_mul_f64 v[40:41], v[29:30], v[17:18]
	v_mul_f64 v[17:18], v[27:28], v[17:18]
	v_fma_f64 v[88:89], v[27:28], v[15:16], v[40:41]
	v_fma_f64 v[90:91], v[29:30], v[15:16], -v[17:18]
	s_clause 0x1
	global_load_dwordx4 v[15:18], v92, s[10:11] offset:672
	global_load_dwordx4 v[27:30], v92, s[10:11] offset:752
	s_waitcnt vmcnt(4) lgkmcnt(0)
	v_mul_f64 v[40:41], v[54:55], v[21:22]
	v_mul_f64 v[21:22], v[52:53], v[21:22]
	v_fma_f64 v[52:53], v[52:53], v[19:20], v[40:41]
	v_fma_f64 v[54:55], v[54:55], v[19:20], -v[21:22]
	ds_read_b128 v[19:22], v13 offset:15680
	ds_read_b128 v[40:43], v13 offset:12544
	s_waitcnt vmcnt(3) lgkmcnt(1)
	v_mul_f64 v[92:93], v[21:22], v[46:47]
	v_fma_f64 v[92:93], v[19:20], v[44:45], v[92:93]
	v_mul_f64 v[19:20], v[19:20], v[46:47]
	v_fma_f64 v[94:95], v[21:22], v[44:45], -v[19:20]
	ds_read_b128 v[19:22], v13 offset:3136
	ds_read_b128 v[44:47], v13
	s_waitcnt vmcnt(1) lgkmcnt(1)
	v_mul_f64 v[96:97], v[21:22], v[17:18]
	v_mul_f64 v[17:18], v[19:20], v[17:18]
	v_fma_f64 v[96:97], v[19:20], v[15:16], v[96:97]
	v_fma_f64 v[19:20], v[21:22], v[15:16], -v[17:18]
	ds_read_b128 v[15:18], v13 offset:18816
	v_mov_b32_e32 v13, 0x14f
	v_mul_u32_u24_sdwa v0, v0, v13 dst_sel:DWORD dst_unused:UNUSED_PAD src0_sel:WORD_0 src1_sel:DWORD
	v_lshrrev_b32_e32 v0, 16, v0
	v_mul_lo_u16 v0, 0x157, v0
	s_waitcnt vmcnt(0) lgkmcnt(0)
	v_mul_f64 v[21:22], v[17:18], v[29:30]
	v_add_nc_u32_sdwa v98, v0, v14 dst_sel:DWORD dst_unused:UNUSED_PAD src0_sel:WORD_0 src1_sel:DWORD
	v_mul_f64 v[13:14], v[66:67], v[70:71]
	v_fma_f64 v[21:22], v[15:16], v[27:28], v[21:22]
	v_mul_f64 v[15:16], v[15:16], v[29:30]
	v_mul_f64 v[29:30], v[86:87], v[50:51]
	v_fma_f64 v[15:16], v[17:18], v[27:28], -v[15:16]
	v_mul_f64 v[17:18], v[82:83], v[25:26]
	v_mul_f64 v[25:26], v[80:81], v[25:26]
	;; [unrolled: 1-line block ×3, first 2 shown]
	v_fma_f64 v[29:30], v[48:49], v[78:79], -v[29:30]
	v_fma_f64 v[17:18], v[23:24], v[80:81], -v[17:18]
	v_fma_f64 v[23:24], v[23:24], v[82:83], v[25:26]
	v_mul_f64 v[25:26], v[84:85], v[38:39]
	v_fma_f64 v[27:28], v[36:37], v[84:85], v[27:28]
	v_mad_u64_u32 v[38:39], null, s0, v31, 0
	v_add_nc_u32_e32 v80, 0x93, v98
	v_add_nc_u32_e32 v84, 0xf5, v98
	v_add_f64 v[82:83], v[19:20], v[15:16]
	v_add_f64 v[15:16], v[19:20], -v[15:16]
	v_mov_b32_e32 v0, v39
	v_fma_f64 v[25:26], v[36:37], v[76:77], -v[25:26]
	v_mul_f64 v[36:37], v[78:79], v[50:51]
	v_mul_f64 v[50:51], v[64:65], v[70:71]
	v_mad_u64_u32 v[70:71], null, s1, v31, v[0:1]
	v_add_nc_u32_e32 v78, 49, v98
	v_add_nc_u32_e32 v79, 0x62, v98
	v_fma_f64 v[64:65], v[68:69], v[64:65], -v[13:14]
	s_lshl_b64 s[0:1], s[2:3], 4
	s_add_u32 s0, s8, s0
	v_mov_b32_e32 v39, v70
	v_mad_u64_u32 v[70:71], null, s4, v78, 0
	v_mad_u64_u32 v[76:77], null, s4, v79, 0
	v_lshlrev_b64 v[38:39], 4, v[38:39]
	s_addc_u32 s1, s9, s1
	v_mov_b32_e32 v31, v71
	v_fma_f64 v[36:37], v[48:49], v[86:87], v[36:37]
	v_mad_u64_u32 v[48:49], null, s4, v98, 0
	v_fma_f64 v[13:14], v[68:69], v[66:67], v[50:51]
	v_mad_u64_u32 v[50:51], null, s4, v80, 0
	v_mov_b32_e32 v0, v49
	v_mov_b32_e32 v49, v77
	v_mad_u64_u32 v[66:67], null, s5, v98, v[0:1]
	v_mad_u64_u32 v[67:68], null, s5, v78, v[31:32]
	;; [unrolled: 1-line block ×3, first 2 shown]
	v_mul_f64 v[78:79], v[42:43], v[34:35]
	v_mul_f64 v[34:35], v[40:41], v[34:35]
	v_add_nc_u32_e32 v31, 0xc4, v98
	v_mov_b32_e32 v49, v66
	v_mov_b32_e32 v0, v51
	;; [unrolled: 1-line block ×4, first 2 shown]
	v_mad_u64_u32 v[66:67], null, s4, v31, 0
	v_mad_u64_u32 v[80:81], null, s5, v80, v[0:1]
	v_lshlrev_b64 v[48:49], 4, v[48:49]
	v_lshlrev_b64 v[70:71], 4, v[70:71]
	v_lshlrev_b64 v[76:77], 4, v[76:77]
	v_mov_b32_e32 v0, v67
	v_mov_b32_e32 v51, v80
	v_add_f64 v[80:81], v[54:55], v[94:95]
	v_add_f64 v[54:55], v[54:55], -v[94:95]
	v_mad_u64_u32 v[67:68], null, s5, v31, v[0:1]
	v_fma_f64 v[40:41], v[40:41], v[32:33], v[78:79]
	v_fma_f64 v[31:32], v[42:43], v[32:33], -v[34:35]
	v_add_f64 v[33:34], v[52:53], v[92:93]
	v_add_f64 v[42:43], v[96:97], v[21:22]
	v_add_f64 v[52:53], v[52:53], -v[92:93]
	v_mad_u64_u32 v[68:69], null, s4, v84, 0
	v_add_f64 v[21:22], v[96:97], -v[21:22]
	v_add_nc_u32_e32 v35, 0x126, v98
	v_add_co_u32 v94, vcc_lo, s0, v38
	v_add_co_ci_u32_e32 v95, vcc_lo, s1, v39, vcc_lo
	v_mov_b32_e32 v0, v69
	v_lshlrev_b64 v[50:51], 4, v[50:51]
	v_lshlrev_b64 v[66:67], 4, v[66:67]
	v_mad_u64_u32 v[84:85], null, s5, v84, v[0:1]
	v_add_f64 v[78:79], v[88:89], v[40:41]
	v_add_f64 v[40:41], v[40:41], -v[88:89]
	v_add_f64 v[86:87], v[90:91], v[31:32]
	v_add_f64 v[31:32], v[31:32], -v[90:91]
	v_mov_b32_e32 v69, v84
	v_add_f64 v[84:85], v[33:34], v[42:43]
	v_add_f64 v[88:89], v[80:81], v[82:83]
	v_lshlrev_b64 v[68:69], 4, v[68:69]
	v_add_f64 v[19:20], v[78:79], -v[33:34]
	v_add_f64 v[90:91], v[40:41], v[52:53]
	v_add_f64 v[33:34], v[33:34], -v[42:43]
	v_add_f64 v[42:43], v[42:43], -v[78:79]
	v_add_f64 v[92:93], v[31:32], -v[54:55]
	v_add_f64 v[78:79], v[78:79], v[84:85]
	v_add_f64 v[84:85], v[86:87], -v[80:81]
	v_add_f64 v[80:81], v[80:81], -v[82:83]
	;; [unrolled: 4-line block ×3, first 2 shown]
	v_add_f64 v[52:53], v[52:53], -v[21:22]
	v_add_f64 v[21:22], v[90:91], v[21:22]
	v_add_f64 v[90:91], v[31:32], v[54:55]
	v_add_f64 v[31:32], v[15:16], -v[31:32]
	v_add_f64 v[54:55], v[54:55], -v[15:16]
	v_mul_f64 v[42:43], v[42:43], s[12:13]
	v_add_f64 v[44:45], v[44:45], v[78:79]
	v_add_f64 v[46:47], v[46:47], v[86:87]
	v_mul_f64 v[88:89], v[88:89], s[16:17]
	v_add_f64 v[15:16], v[90:91], v[15:16]
	v_mul_f64 v[90:91], v[52:53], s[18:19]
	v_fma_f64 v[78:79], v[78:79], s[6:7], v[44:45]
	v_fma_f64 v[86:87], v[86:87], s[6:7], v[46:47]
	v_fma_f64 v[52:53], v[52:53], s[18:19], -v[88:89]
	v_fma_f64 v[88:89], v[40:41], s[26:27], v[88:89]
	v_fma_f64 v[40:41], v[40:41], s[28:29], -v[90:91]
	v_mul_f64 v[90:91], v[92:93], s[16:17]
	v_mul_f64 v[92:93], v[54:55], s[18:19]
	v_fma_f64 v[52:53], v[21:22], s[20:21], v[52:53]
	v_fma_f64 v[54:55], v[54:55], s[18:19], -v[90:91]
	v_fma_f64 v[90:91], v[31:32], s[26:27], v[90:91]
	v_fma_f64 v[31:32], v[31:32], s[28:29], -v[92:93]
	v_mul_f64 v[92:93], v[19:20], s[14:15]
	v_fma_f64 v[19:20], v[19:20], s[14:15], v[42:43]
	v_fma_f64 v[54:55], v[15:16], s[20:21], v[54:55]
	v_fma_f64 v[92:93], v[33:34], s[22:23], -v[92:93]
	v_fma_f64 v[33:34], v[33:34], s[24:25], -v[42:43]
	v_mul_f64 v[42:43], v[82:83], s[12:13]
	v_mul_f64 v[82:83], v[84:85], s[14:15]
	v_add_f64 v[19:20], v[19:20], v[78:79]
	v_add_f64 v[33:34], v[33:34], v[78:79]
	v_fma_f64 v[84:85], v[84:85], s[14:15], v[42:43]
	v_fma_f64 v[82:83], v[80:81], s[22:23], -v[82:83]
	v_fma_f64 v[42:43], v[80:81], s[24:25], -v[42:43]
	v_fma_f64 v[80:81], v[21:22], s[20:21], v[88:89]
	v_fma_f64 v[21:22], v[21:22], s[20:21], v[40:41]
	;; [unrolled: 1-line block ×4, first 2 shown]
	v_mul_f64 v[31:32], v[56:57], v[3:4]
	v_add_f64 v[90:91], v[92:93], v[78:79]
	v_mul_f64 v[78:79], v[62:63], v[7:8]
	v_mad_u64_u32 v[40:41], null, s4, v35, 0
	v_mul_f64 v[3:4], v[58:59], v[3:4]
	v_mul_f64 v[7:8], v[72:73], v[7:8]
	v_mov_b32_e32 v0, v41
	v_add_f64 v[84:85], v[84:85], v[86:87]
	v_add_f64 v[82:83], v[82:83], v[86:87]
	;; [unrolled: 1-line block ×3, first 2 shown]
	v_mul_f64 v[86:87], v[60:61], v[11:12]
	v_mad_u64_u32 v[38:39], null, s5, v35, v[0:1]
	v_mul_f64 v[11:12], v[74:75], v[11:12]
	v_fma_f64 v[31:32], v[1:2], v[58:59], v[31:32]
	v_mov_b32_e32 v41, v38
	v_fma_f64 v[38:39], v[5:6], v[72:73], v[78:79]
	v_add_f64 v[72:73], v[15:16], v[33:34]
	v_add_f64 v[33:34], v[33:34], -v[15:16]
	v_add_f64 v[15:16], v[19:20], -v[88:89]
	v_lshlrev_b64 v[40:41], 4, v[40:41]
	v_add_f64 v[78:79], v[84:85], -v[80:81]
	v_fma_f64 v[58:59], v[9:10], v[74:75], v[86:87]
	v_add_f64 v[74:75], v[88:89], v[19:20]
	v_add_f64 v[19:20], v[80:81], v[84:85]
	;; [unrolled: 1-line block ×3, first 2 shown]
	v_add_f64 v[52:53], v[82:83], -v[52:53]
	v_add_f64 v[82:83], v[90:91], -v[54:55]
	;; [unrolled: 1-line block ×3, first 2 shown]
	v_add_f64 v[54:55], v[54:55], v[90:91]
	v_add_f64 v[21:22], v[21:22], v[42:43]
	v_add_co_u32 v42, vcc_lo, v94, v48
	v_add_co_ci_u32_e32 v43, vcc_lo, v95, v49, vcc_lo
	v_fma_f64 v[48:49], v[1:2], v[56:57], -v[3:4]
	v_fma_f64 v[56:57], v[5:6], v[62:63], -v[7:8]
	v_mul_f64 v[0:1], v[44:45], v[23:24]
	v_mul_f64 v[4:5], v[46:47], v[23:24]
	v_fma_f64 v[60:61], v[9:10], v[60:61], -v[11:12]
	v_mul_f64 v[6:7], v[15:16], v[27:28]
	v_mul_f64 v[62:63], v[33:34], v[36:37]
	v_add_co_u32 v70, vcc_lo, v94, v70
	v_add_co_ci_u32_e32 v71, vcc_lo, v95, v71, vcc_lo
	v_mul_f64 v[8:9], v[19:20], v[27:28]
	v_mul_f64 v[23:24], v[80:81], v[31:32]
	;; [unrolled: 1-line block ×10, first 2 shown]
	v_add_co_u32 v76, vcc_lo, v94, v76
	v_add_co_ci_u32_e32 v77, vcc_lo, v95, v77, vcc_lo
	v_fma_f64 v[2:3], v[46:47], v[17:18], -v[0:1]
	v_fma_f64 v[0:1], v[44:45], v[17:18], v[4:5]
	v_fma_f64 v[6:7], v[19:20], v[25:26], -v[6:7]
	v_fma_f64 v[4:5], v[15:16], v[25:26], v[8:9]
	v_fma_f64 v[8:9], v[82:83], v[48:49], v[23:24]
	v_fma_f64 v[14:15], v[84:85], v[56:57], -v[27:28]
	v_fma_f64 v[10:11], v[80:81], v[48:49], -v[10:11]
	v_fma_f64 v[12:13], v[72:73], v[56:57], v[31:32]
	v_fma_f64 v[18:19], v[78:79], v[60:61], -v[38:39]
	v_fma_f64 v[16:17], v[74:75], v[60:61], v[58:59]
	;; [unrolled: 2-line block ×4, first 2 shown]
	v_add_co_u32 v28, vcc_lo, v94, v50
	v_add_co_ci_u32_e32 v29, vcc_lo, v95, v51, vcc_lo
	v_add_co_u32 v30, vcc_lo, v94, v66
	v_add_co_ci_u32_e32 v31, vcc_lo, v95, v67, vcc_lo
	;; [unrolled: 2-line block ×4, first 2 shown]
	global_store_dwordx4 v[42:43], v[0:3], off
	global_store_dwordx4 v[70:71], v[16:19], off
	;; [unrolled: 1-line block ×7, first 2 shown]
.LBB0_8:
	s_endpgm
	.section	.rodata,"a",@progbits
	.p2align	6, 0x0
	.amdhsa_kernel fft_rtc_back_len343_factors_7_7_7_wgs_196_tpt_49_dim2_dp_ip_CI_sbcc_twdbase6_3step_dirReg
		.amdhsa_group_segment_fixed_size 0
		.amdhsa_private_segment_fixed_size 0
		.amdhsa_kernarg_size 88
		.amdhsa_user_sgpr_count 6
		.amdhsa_user_sgpr_private_segment_buffer 1
		.amdhsa_user_sgpr_dispatch_ptr 0
		.amdhsa_user_sgpr_queue_ptr 0
		.amdhsa_user_sgpr_kernarg_segment_ptr 1
		.amdhsa_user_sgpr_dispatch_id 0
		.amdhsa_user_sgpr_flat_scratch_init 0
		.amdhsa_user_sgpr_private_segment_size 0
		.amdhsa_wavefront_size32 1
		.amdhsa_uses_dynamic_stack 0
		.amdhsa_system_sgpr_private_segment_wavefront_offset 0
		.amdhsa_system_sgpr_workgroup_id_x 1
		.amdhsa_system_sgpr_workgroup_id_y 0
		.amdhsa_system_sgpr_workgroup_id_z 0
		.amdhsa_system_sgpr_workgroup_info 0
		.amdhsa_system_vgpr_workitem_id 0
		.amdhsa_next_free_vgpr 99
		.amdhsa_next_free_sgpr 32
		.amdhsa_reserve_vcc 1
		.amdhsa_reserve_flat_scratch 0
		.amdhsa_float_round_mode_32 0
		.amdhsa_float_round_mode_16_64 0
		.amdhsa_float_denorm_mode_32 3
		.amdhsa_float_denorm_mode_16_64 3
		.amdhsa_dx10_clamp 1
		.amdhsa_ieee_mode 1
		.amdhsa_fp16_overflow 0
		.amdhsa_workgroup_processor_mode 1
		.amdhsa_memory_ordered 1
		.amdhsa_forward_progress 0
		.amdhsa_shared_vgpr_count 0
		.amdhsa_exception_fp_ieee_invalid_op 0
		.amdhsa_exception_fp_denorm_src 0
		.amdhsa_exception_fp_ieee_div_zero 0
		.amdhsa_exception_fp_ieee_overflow 0
		.amdhsa_exception_fp_ieee_underflow 0
		.amdhsa_exception_fp_ieee_inexact 0
		.amdhsa_exception_int_div_zero 0
	.end_amdhsa_kernel
	.text
.Lfunc_end0:
	.size	fft_rtc_back_len343_factors_7_7_7_wgs_196_tpt_49_dim2_dp_ip_CI_sbcc_twdbase6_3step_dirReg, .Lfunc_end0-fft_rtc_back_len343_factors_7_7_7_wgs_196_tpt_49_dim2_dp_ip_CI_sbcc_twdbase6_3step_dirReg
                                        ; -- End function
	.section	.AMDGPU.csdata,"",@progbits
; Kernel info:
; codeLenInByte = 5632
; NumSgprs: 34
; NumVgprs: 99
; ScratchSize: 0
; MemoryBound: 1
; FloatMode: 240
; IeeeMode: 1
; LDSByteSize: 0 bytes/workgroup (compile time only)
; SGPRBlocks: 4
; VGPRBlocks: 12
; NumSGPRsForWavesPerEU: 34
; NumVGPRsForWavesPerEU: 99
; Occupancy: 9
; WaveLimiterHint : 1
; COMPUTE_PGM_RSRC2:SCRATCH_EN: 0
; COMPUTE_PGM_RSRC2:USER_SGPR: 6
; COMPUTE_PGM_RSRC2:TRAP_HANDLER: 0
; COMPUTE_PGM_RSRC2:TGID_X_EN: 1
; COMPUTE_PGM_RSRC2:TGID_Y_EN: 0
; COMPUTE_PGM_RSRC2:TGID_Z_EN: 0
; COMPUTE_PGM_RSRC2:TIDIG_COMP_CNT: 0
	.text
	.p2alignl 6, 3214868480
	.fill 48, 4, 3214868480
	.type	__hip_cuid_df3bdf50a2a291be,@object ; @__hip_cuid_df3bdf50a2a291be
	.section	.bss,"aw",@nobits
	.globl	__hip_cuid_df3bdf50a2a291be
__hip_cuid_df3bdf50a2a291be:
	.byte	0                               ; 0x0
	.size	__hip_cuid_df3bdf50a2a291be, 1

	.ident	"AMD clang version 19.0.0git (https://github.com/RadeonOpenCompute/llvm-project roc-6.4.0 25133 c7fe45cf4b819c5991fe208aaa96edf142730f1d)"
	.section	".note.GNU-stack","",@progbits
	.addrsig
	.addrsig_sym __hip_cuid_df3bdf50a2a291be
	.amdgpu_metadata
---
amdhsa.kernels:
  - .args:
      - .actual_access:  read_only
        .address_space:  global
        .offset:         0
        .size:           8
        .value_kind:     global_buffer
      - .address_space:  global
        .offset:         8
        .size:           8
        .value_kind:     global_buffer
      - .actual_access:  read_only
        .address_space:  global
        .offset:         16
        .size:           8
        .value_kind:     global_buffer
      - .actual_access:  read_only
        .address_space:  global
        .offset:         24
        .size:           8
        .value_kind:     global_buffer
      - .offset:         32
        .size:           8
        .value_kind:     by_value
      - .actual_access:  read_only
        .address_space:  global
        .offset:         40
        .size:           8
        .value_kind:     global_buffer
      - .actual_access:  read_only
        .address_space:  global
        .offset:         48
        .size:           8
        .value_kind:     global_buffer
      - .offset:         56
        .size:           4
        .value_kind:     by_value
      - .actual_access:  read_only
        .address_space:  global
        .offset:         64
        .size:           8
        .value_kind:     global_buffer
      - .actual_access:  read_only
        .address_space:  global
        .offset:         72
        .size:           8
        .value_kind:     global_buffer
      - .address_space:  global
        .offset:         80
        .size:           8
        .value_kind:     global_buffer
    .group_segment_fixed_size: 0
    .kernarg_segment_align: 8
    .kernarg_segment_size: 88
    .language:       OpenCL C
    .language_version:
      - 2
      - 0
    .max_flat_workgroup_size: 196
    .name:           fft_rtc_back_len343_factors_7_7_7_wgs_196_tpt_49_dim2_dp_ip_CI_sbcc_twdbase6_3step_dirReg
    .private_segment_fixed_size: 0
    .sgpr_count:     34
    .sgpr_spill_count: 0
    .symbol:         fft_rtc_back_len343_factors_7_7_7_wgs_196_tpt_49_dim2_dp_ip_CI_sbcc_twdbase6_3step_dirReg.kd
    .uniform_work_group_size: 1
    .uses_dynamic_stack: false
    .vgpr_count:     99
    .vgpr_spill_count: 0
    .wavefront_size: 32
    .workgroup_processor_mode: 1
amdhsa.target:   amdgcn-amd-amdhsa--gfx1030
amdhsa.version:
  - 1
  - 2
...

	.end_amdgpu_metadata
